;; amdgpu-corpus repo=ROCm/rocFFT kind=compiled arch=gfx906 opt=O3
	.text
	.amdgcn_target "amdgcn-amd-amdhsa--gfx906"
	.amdhsa_code_object_version 6
	.protected	fft_rtc_fwd_len1540_factors_11_2_7_5_2_wgs_154_tpt_154_halfLds_half_op_CI_CI_unitstride_sbrr_R2C_dirReg ; -- Begin function fft_rtc_fwd_len1540_factors_11_2_7_5_2_wgs_154_tpt_154_halfLds_half_op_CI_CI_unitstride_sbrr_R2C_dirReg
	.globl	fft_rtc_fwd_len1540_factors_11_2_7_5_2_wgs_154_tpt_154_halfLds_half_op_CI_CI_unitstride_sbrr_R2C_dirReg
	.p2align	8
	.type	fft_rtc_fwd_len1540_factors_11_2_7_5_2_wgs_154_tpt_154_halfLds_half_op_CI_CI_unitstride_sbrr_R2C_dirReg,@function
fft_rtc_fwd_len1540_factors_11_2_7_5_2_wgs_154_tpt_154_halfLds_half_op_CI_CI_unitstride_sbrr_R2C_dirReg: ; @fft_rtc_fwd_len1540_factors_11_2_7_5_2_wgs_154_tpt_154_halfLds_half_op_CI_CI_unitstride_sbrr_R2C_dirReg
; %bb.0:
	s_load_dwordx4 s[8:11], s[4:5], 0x58
	s_load_dwordx4 s[12:15], s[4:5], 0x0
	;; [unrolled: 1-line block ×3, first 2 shown]
	v_mul_u32_u24_e32 v1, 0x1aa, v0
	v_mov_b32_e32 v8, 0
	v_mov_b32_e32 v6, 0
	s_waitcnt lgkmcnt(0)
	v_cmp_lt_u64_e64 s[0:1], s[14:15], 2
	v_add_u32_sdwa v10, s6, v1 dst_sel:DWORD dst_unused:UNUSED_PAD src0_sel:DWORD src1_sel:WORD_1
	v_mov_b32_e32 v11, v8
	s_and_b64 vcc, exec, s[0:1]
	v_mov_b32_e32 v7, 0
	s_cbranch_vccnz .LBB0_8
; %bb.1:
	s_load_dwordx2 s[0:1], s[4:5], 0x10
	s_add_u32 s2, s18, 8
	s_addc_u32 s3, s19, 0
	s_add_u32 s6, s16, 8
	s_addc_u32 s7, s17, 0
	v_mov_b32_e32 v6, 0
	s_waitcnt lgkmcnt(0)
	s_add_u32 s20, s0, 8
	v_mov_b32_e32 v7, 0
	v_mov_b32_e32 v1, v6
	s_addc_u32 s21, s1, 0
	s_mov_b64 s[22:23], 1
	v_mov_b32_e32 v2, v7
.LBB0_2:                                ; =>This Inner Loop Header: Depth=1
	s_load_dwordx2 s[24:25], s[20:21], 0x0
                                        ; implicit-def: $vgpr3_vgpr4
	s_waitcnt lgkmcnt(0)
	v_or_b32_e32 v9, s25, v11
	v_cmp_ne_u64_e32 vcc, 0, v[8:9]
	s_and_saveexec_b64 s[0:1], vcc
	s_xor_b64 s[26:27], exec, s[0:1]
	s_cbranch_execz .LBB0_4
; %bb.3:                                ;   in Loop: Header=BB0_2 Depth=1
	v_cvt_f32_u32_e32 v3, s24
	v_cvt_f32_u32_e32 v4, s25
	s_sub_u32 s0, 0, s24
	s_subb_u32 s1, 0, s25
	v_mac_f32_e32 v3, 0x4f800000, v4
	v_rcp_f32_e32 v3, v3
	v_mul_f32_e32 v3, 0x5f7ffffc, v3
	v_mul_f32_e32 v4, 0x2f800000, v3
	v_trunc_f32_e32 v4, v4
	v_mac_f32_e32 v3, 0xcf800000, v4
	v_cvt_u32_f32_e32 v4, v4
	v_cvt_u32_f32_e32 v3, v3
	v_mul_lo_u32 v5, s0, v4
	v_mul_hi_u32 v9, s0, v3
	v_mul_lo_u32 v13, s1, v3
	v_mul_lo_u32 v12, s0, v3
	v_add_u32_e32 v5, v9, v5
	v_add_u32_e32 v5, v5, v13
	v_mul_hi_u32 v9, v3, v12
	v_mul_lo_u32 v13, v3, v5
	v_mul_hi_u32 v15, v3, v5
	v_mul_hi_u32 v14, v4, v12
	v_mul_lo_u32 v12, v4, v12
	v_mul_hi_u32 v16, v4, v5
	v_add_co_u32_e32 v9, vcc, v9, v13
	v_addc_co_u32_e32 v13, vcc, 0, v15, vcc
	v_mul_lo_u32 v5, v4, v5
	v_add_co_u32_e32 v9, vcc, v9, v12
	v_addc_co_u32_e32 v9, vcc, v13, v14, vcc
	v_addc_co_u32_e32 v12, vcc, 0, v16, vcc
	v_add_co_u32_e32 v5, vcc, v9, v5
	v_addc_co_u32_e32 v9, vcc, 0, v12, vcc
	v_add_co_u32_e32 v3, vcc, v3, v5
	v_addc_co_u32_e32 v4, vcc, v4, v9, vcc
	v_mul_lo_u32 v5, s0, v4
	v_mul_hi_u32 v9, s0, v3
	v_mul_lo_u32 v12, s1, v3
	v_mul_lo_u32 v13, s0, v3
	v_add_u32_e32 v5, v9, v5
	v_add_u32_e32 v5, v5, v12
	v_mul_lo_u32 v14, v3, v5
	v_mul_hi_u32 v15, v3, v13
	v_mul_hi_u32 v16, v3, v5
	v_mul_hi_u32 v12, v4, v13
	v_mul_lo_u32 v13, v4, v13
	v_mul_hi_u32 v9, v4, v5
	v_add_co_u32_e32 v14, vcc, v15, v14
	v_addc_co_u32_e32 v15, vcc, 0, v16, vcc
	v_mul_lo_u32 v5, v4, v5
	v_add_co_u32_e32 v13, vcc, v14, v13
	v_addc_co_u32_e32 v12, vcc, v15, v12, vcc
	v_addc_co_u32_e32 v9, vcc, 0, v9, vcc
	v_add_co_u32_e32 v5, vcc, v12, v5
	v_addc_co_u32_e32 v9, vcc, 0, v9, vcc
	v_add_co_u32_e32 v5, vcc, v3, v5
	v_addc_co_u32_e32 v9, vcc, v4, v9, vcc
	v_mad_u64_u32 v[3:4], s[0:1], v10, v9, 0
	v_mul_hi_u32 v12, v10, v5
	v_add_co_u32_e32 v14, vcc, v12, v3
	v_addc_co_u32_e32 v15, vcc, 0, v4, vcc
	v_mad_u64_u32 v[3:4], s[0:1], v11, v5, 0
	v_mad_u64_u32 v[12:13], s[0:1], v11, v9, 0
	v_add_co_u32_e32 v3, vcc, v14, v3
	v_addc_co_u32_e32 v3, vcc, v15, v4, vcc
	v_addc_co_u32_e32 v4, vcc, 0, v13, vcc
	v_add_co_u32_e32 v5, vcc, v3, v12
	v_addc_co_u32_e32 v9, vcc, 0, v4, vcc
	v_mul_lo_u32 v12, s25, v5
	v_mul_lo_u32 v13, s24, v9
	v_mad_u64_u32 v[3:4], s[0:1], s24, v5, 0
	v_add3_u32 v4, v4, v13, v12
	v_sub_u32_e32 v12, v11, v4
	v_mov_b32_e32 v13, s25
	v_sub_co_u32_e32 v3, vcc, v10, v3
	v_subb_co_u32_e64 v12, s[0:1], v12, v13, vcc
	v_subrev_co_u32_e64 v13, s[0:1], s24, v3
	v_subbrev_co_u32_e64 v12, s[0:1], 0, v12, s[0:1]
	v_cmp_le_u32_e64 s[0:1], s25, v12
	v_cndmask_b32_e64 v14, 0, -1, s[0:1]
	v_cmp_le_u32_e64 s[0:1], s24, v13
	v_cndmask_b32_e64 v13, 0, -1, s[0:1]
	v_cmp_eq_u32_e64 s[0:1], s25, v12
	v_cndmask_b32_e64 v12, v14, v13, s[0:1]
	v_add_co_u32_e64 v13, s[0:1], 2, v5
	v_addc_co_u32_e64 v14, s[0:1], 0, v9, s[0:1]
	v_add_co_u32_e64 v15, s[0:1], 1, v5
	v_addc_co_u32_e64 v16, s[0:1], 0, v9, s[0:1]
	v_subb_co_u32_e32 v4, vcc, v11, v4, vcc
	v_cmp_ne_u32_e64 s[0:1], 0, v12
	v_cmp_le_u32_e32 vcc, s25, v4
	v_cndmask_b32_e64 v12, v16, v14, s[0:1]
	v_cndmask_b32_e64 v14, 0, -1, vcc
	v_cmp_le_u32_e32 vcc, s24, v3
	v_cndmask_b32_e64 v3, 0, -1, vcc
	v_cmp_eq_u32_e32 vcc, s25, v4
	v_cndmask_b32_e32 v3, v14, v3, vcc
	v_cmp_ne_u32_e32 vcc, 0, v3
	v_cndmask_b32_e64 v3, v15, v13, s[0:1]
	v_cndmask_b32_e32 v4, v9, v12, vcc
	v_cndmask_b32_e32 v3, v5, v3, vcc
.LBB0_4:                                ;   in Loop: Header=BB0_2 Depth=1
	s_andn2_saveexec_b64 s[0:1], s[26:27]
	s_cbranch_execz .LBB0_6
; %bb.5:                                ;   in Loop: Header=BB0_2 Depth=1
	v_cvt_f32_u32_e32 v3, s24
	s_sub_i32 s26, 0, s24
	v_rcp_iflag_f32_e32 v3, v3
	v_mul_f32_e32 v3, 0x4f7ffffe, v3
	v_cvt_u32_f32_e32 v3, v3
	v_mul_lo_u32 v4, s26, v3
	v_mul_hi_u32 v4, v3, v4
	v_add_u32_e32 v3, v3, v4
	v_mul_hi_u32 v3, v10, v3
	v_mul_lo_u32 v4, v3, s24
	v_add_u32_e32 v5, 1, v3
	v_sub_u32_e32 v4, v10, v4
	v_subrev_u32_e32 v9, s24, v4
	v_cmp_le_u32_e32 vcc, s24, v4
	v_cndmask_b32_e32 v4, v4, v9, vcc
	v_cndmask_b32_e32 v3, v3, v5, vcc
	v_add_u32_e32 v5, 1, v3
	v_cmp_le_u32_e32 vcc, s24, v4
	v_cndmask_b32_e32 v3, v3, v5, vcc
	v_mov_b32_e32 v4, v8
.LBB0_6:                                ;   in Loop: Header=BB0_2 Depth=1
	s_or_b64 exec, exec, s[0:1]
	v_mul_lo_u32 v5, v4, s24
	v_mul_lo_u32 v9, v3, s25
	v_mad_u64_u32 v[12:13], s[0:1], v3, s24, 0
	s_load_dwordx2 s[0:1], s[6:7], 0x0
	s_load_dwordx2 s[24:25], s[2:3], 0x0
	v_add3_u32 v5, v13, v9, v5
	v_sub_co_u32_e32 v9, vcc, v10, v12
	v_subb_co_u32_e32 v5, vcc, v11, v5, vcc
	s_waitcnt lgkmcnt(0)
	v_mul_lo_u32 v10, s0, v5
	v_mul_lo_u32 v11, s1, v9
	v_mad_u64_u32 v[6:7], s[0:1], s0, v9, v[6:7]
	s_add_u32 s22, s22, 1
	s_addc_u32 s23, s23, 0
	s_add_u32 s2, s2, 8
	v_mul_lo_u32 v5, s24, v5
	v_mul_lo_u32 v12, s25, v9
	v_mad_u64_u32 v[1:2], s[0:1], s24, v9, v[1:2]
	v_add3_u32 v7, v11, v7, v10
	s_addc_u32 s3, s3, 0
	v_mov_b32_e32 v9, s14
	s_add_u32 s6, s6, 8
	v_mov_b32_e32 v10, s15
	s_addc_u32 s7, s7, 0
	v_cmp_ge_u64_e32 vcc, s[22:23], v[9:10]
	s_add_u32 s20, s20, 8
	v_add3_u32 v2, v12, v2, v5
	s_addc_u32 s21, s21, 0
	s_cbranch_vccnz .LBB0_9
; %bb.7:                                ;   in Loop: Header=BB0_2 Depth=1
	v_mov_b32_e32 v11, v4
	v_mov_b32_e32 v10, v3
	s_branch .LBB0_2
.LBB0_8:
	v_mov_b32_e32 v1, v6
	v_mov_b32_e32 v3, v10
	;; [unrolled: 1-line block ×4, first 2 shown]
.LBB0_9:
	s_load_dwordx2 s[4:5], s[4:5], 0x28
	s_lshl_b64 s[6:7], s[14:15], 3
	s_add_u32 s2, s18, s6
	s_addc_u32 s3, s19, s7
                                        ; implicit-def: $vgpr5
	s_waitcnt lgkmcnt(0)
	v_cmp_gt_u64_e64 s[0:1], s[4:5], v[3:4]
	v_cmp_le_u64_e32 vcc, s[4:5], v[3:4]
	s_and_saveexec_b64 s[4:5], vcc
	s_xor_b64 s[4:5], exec, s[4:5]
; %bb.10:
	s_mov_b32 s14, 0x1a98ef7
	v_mul_hi_u32 v5, v0, s14
                                        ; implicit-def: $vgpr6_vgpr7
	v_mul_u32_u24_e32 v5, 0x9a, v5
	v_sub_u32_e32 v5, v0, v5
                                        ; implicit-def: $vgpr0
; %bb.11:
	s_andn2_saveexec_b64 s[4:5], s[4:5]
	s_cbranch_execz .LBB0_13
; %bb.12:
	s_add_u32 s6, s16, s6
	s_addc_u32 s7, s17, s7
	s_load_dwordx2 s[6:7], s[6:7], 0x0
	s_mov_b32 s14, 0x1a98ef7
	v_mul_hi_u32 v5, v0, s14
	v_lshlrev_b64 v[6:7], 2, v[6:7]
	s_waitcnt lgkmcnt(0)
	v_mul_lo_u32 v10, s7, v3
	v_mul_lo_u32 v11, s6, v4
	v_mad_u64_u32 v[8:9], s[6:7], s6, v3, 0
	v_mul_u32_u24_e32 v5, 0x9a, v5
	v_sub_u32_e32 v5, v0, v5
	v_add3_u32 v9, v9, v11, v10
	v_lshlrev_b64 v[8:9], 2, v[8:9]
	v_mov_b32_e32 v0, s9
	v_add_co_u32_e32 v8, vcc, s8, v8
	v_addc_co_u32_e32 v0, vcc, v0, v9, vcc
	v_add_co_u32_e32 v6, vcc, v8, v6
	v_addc_co_u32_e32 v0, vcc, v0, v7, vcc
	v_lshlrev_b32_e32 v10, 2, v5
	v_add_co_u32_e32 v6, vcc, v6, v10
	v_addc_co_u32_e32 v7, vcc, 0, v0, vcc
	v_add_co_u32_e32 v8, vcc, 0x1000, v6
	v_addc_co_u32_e32 v9, vcc, 0, v7, vcc
	global_load_dword v0, v[6:7], off
	global_load_dword v11, v[6:7], off offset:616
	global_load_dword v12, v[6:7], off offset:1232
	;; [unrolled: 1-line block ×9, first 2 shown]
	v_add_u32_e32 v6, 0, v10
	v_add_u32_e32 v7, 0x400, v6
	;; [unrolled: 1-line block ×5, first 2 shown]
	s_waitcnt vmcnt(8)
	ds_write2_b32 v6, v0, v11 offset1:154
	s_waitcnt vmcnt(6)
	ds_write2_b32 v7, v12, v13 offset0:52 offset1:206
	s_waitcnt vmcnt(4)
	ds_write2_b32 v8, v14, v15 offset0:40 offset1:194
	;; [unrolled: 2-line block ×4, first 2 shown]
.LBB0_13:
	s_or_b64 exec, exec, s[4:5]
	v_lshl_add_u32 v0, v5, 2, 0
	s_waitcnt lgkmcnt(0)
	s_barrier
	ds_read2_b32 v[8:9], v0 offset1:140
	ds_read_b32 v31, v0 offset:5600
	v_add_u32_e32 v6, 0x400, v0
	v_add_u32_e32 v7, 0x1000, v0
	ds_read2_b32 v[12:13], v6 offset0:24 offset1:164
	ds_read2_b32 v[10:11], v7 offset0:96 offset1:236
	s_waitcnt lgkmcnt(2)
	v_pk_add_f16 v19, v9, v31 neg_lo:[0,1] neg_hi:[0,1]
	s_mov_b32 s18, 0xb853
	v_pk_add_f16 v21, v31, v9
	s_movk_i32 s6, 0x3abb
	v_mul_f16_sdwa v35, v19, s18 dst_sel:DWORD dst_unused:UNUSED_PAD src0_sel:WORD_1 src1_sel:DWORD
	s_waitcnt lgkmcnt(0)
	v_pk_add_f16 v20, v12, v11 neg_lo:[0,1] neg_hi:[0,1]
	s_mov_b32 s19, 0xbb47
	v_fma_f16 v7, v21, s6, v35
	v_pk_add_f16 v22, v11, v12
	s_movk_i32 s7, 0x36a6
	v_mul_f16_sdwa v36, v20, s19 dst_sel:DWORD dst_unused:UNUSED_PAD src0_sel:WORD_1 src1_sel:DWORD
	v_lshrrev_b32_e32 v29, 16, v21
	v_add_f16_e32 v7, v8, v7
	v_fma_f16 v14, v22, s7, v36
	v_mul_f16_e32 v38, 0xb853, v19
	v_add_f16_e32 v7, v14, v7
	v_fma_f16 v14, v29, s6, -v38
	v_lshrrev_b32_e32 v30, 16, v22
	v_mul_f16_e32 v39, 0xbb47, v20
	s_mov_b32 s8, 0xbbeb
	v_pk_add_f16 v23, v13, v10 neg_lo:[0,1] neg_hi:[0,1]
	v_add_f16_sdwa v14, v8, v14 dst_sel:DWORD dst_unused:UNUSED_PAD src0_sel:WORD_1 src1_sel:DWORD
	v_fma_f16 v15, v30, s7, -v39
	s_mov_b32 s9, 0xb08e
	v_pk_add_f16 v24, v10, v13
	v_mul_f16_sdwa v37, v23, s8 dst_sel:DWORD dst_unused:UNUSED_PAD src0_sel:WORD_1 src1_sel:DWORD
	v_add_f16_e32 v18, v15, v14
	v_fma_f16 v14, v24, s9, v37
	v_add_f16_e32 v7, v14, v7
	v_add_u32_e32 v14, 0x800, v0
	ds_read2_b32 v[16:17], v14 offset0:48 offset1:188
	v_add_u32_e32 v14, 0xc00, v0
	ds_read2_b32 v[14:15], v14 offset0:72 offset1:212
	v_lshrrev_b32_e32 v33, 16, v24
	v_mul_f16_e32 v41, 0xbbeb, v23
	v_fma_f16 v25, v33, s9, -v41
	v_add_f16_e32 v18, v25, v18
	s_mov_b32 s14, 0xba0c
	s_waitcnt lgkmcnt(0)
	v_pk_add_f16 v25, v16, v15 neg_lo:[0,1] neg_hi:[0,1]
	s_mov_b32 s15, 0xb93d
	v_pk_add_f16 v26, v15, v16
	v_mul_f16_sdwa v40, v25, s14 dst_sel:DWORD dst_unused:UNUSED_PAD src0_sel:WORD_1 src1_sel:DWORD
	v_fma_f16 v27, v26, s15, v40
	v_lshrrev_b32_e32 v32, 16, v26
	v_mul_f16_e32 v43, 0xba0c, v25
	v_add_f16_e32 v7, v27, v7
	v_fma_f16 v27, v32, s15, -v43
	v_add_f16_e32 v18, v27, v18
	v_pk_add_f16 v28, v14, v17
	v_pk_add_f16 v27, v17, v14 neg_lo:[0,1] neg_hi:[0,1]
	s_mov_b32 s17, 0xbbad
	v_lshrrev_b32_e32 v34, 16, v28
	v_mul_f16_e32 v44, 0xb482, v27
	v_fma_f16 v42, v34, s17, -v44
	s_mov_b32 s16, 0xb482
	v_add_f16_e32 v18, v42, v18
	v_mul_f16_sdwa v42, v27, s16 dst_sel:DWORD dst_unused:UNUSED_PAD src0_sel:WORD_1 src1_sel:DWORD
	v_fma_f16 v45, v28, s17, v42
	s_movk_i32 s4, 0x8c
	v_add_f16_e32 v7, v45, v7
	v_cmp_gt_u32_e32 vcc, s4, v5
	s_barrier
	s_and_saveexec_b64 s[4:5], vcc
	s_cbranch_execz .LBB0_15
; %bb.14:
	v_pk_add_f16 v9, v8, v9
	v_pk_add_f16 v9, v9, v12
	;; [unrolled: 1-line block ×8, first 2 shown]
	v_mul_f16_sdwa v10, v19, s19 dst_sel:DWORD dst_unused:UNUSED_PAD src0_sel:WORD_1 src1_sel:DWORD
	v_pk_add_f16 v9, v9, v11
	v_fma_f16 v11, v21, s7, v10
	v_mul_f16_sdwa v12, v20, s14 dst_sel:DWORD dst_unused:UNUSED_PAD src0_sel:WORD_1 src1_sel:DWORD
	v_add_f16_e32 v11, v8, v11
	v_fma_f16 v13, v22, s15, v12
	s_movk_i32 s21, 0x3482
	v_add_f16_e32 v11, v13, v11
	v_mul_f16_sdwa v13, v23, s21 dst_sel:DWORD dst_unused:UNUSED_PAD src0_sel:WORD_1 src1_sel:DWORD
	v_fma_f16 v14, v24, s17, v13
	s_movk_i32 s22, 0x3beb
	v_add_f16_e32 v11, v14, v11
	v_mul_f16_sdwa v14, v25, s22 dst_sel:DWORD dst_unused:UNUSED_PAD src0_sel:WORD_1 src1_sel:DWORD
	;; [unrolled: 4-line block ×3, first 2 shown]
	v_fma_f16 v16, v28, s6, v15
	v_add_f16_e32 v11, v16, v11
	v_mul_f16_e32 v16, 0xb08e, v29
	v_fma_f16 v17, v19, s22, v16
	v_mul_f16_e32 v45, 0xbbad, v30
	v_add_f16_sdwa v17, v8, v17 dst_sel:DWORD dst_unused:UNUSED_PAD src0_sel:WORD_1 src1_sel:DWORD
	v_fma_f16 v46, v20, s16, v45
	v_add_f16_e32 v17, v46, v17
	v_mul_f16_e32 v46, 0x36a6, v33
	v_fma_f16 v47, v23, s19, v46
	v_add_f16_e32 v17, v47, v17
	v_mul_f16_e32 v47, 0x3abb, v32
	;; [unrolled: 3-line block ×3, first 2 shown]
	v_add_f16_e32 v38, v38, v48
	v_mul_f16_e32 v48, 0x36a6, v30
	v_add_f16_e32 v39, v39, v48
	v_add_f16_sdwa v38, v8, v38 dst_sel:DWORD dst_unused:UNUSED_PAD src0_sel:WORD_1 src1_sel:DWORD
	v_add_f16_e32 v38, v39, v38
	v_mul_f16_e32 v39, 0xb08e, v33
	v_add_f16_e32 v39, v41, v39
	v_add_f16_e32 v38, v39, v38
	v_mul_f16_e32 v39, 0xb93d, v32
	v_add_f16_e32 v39, v43, v39
	;; [unrolled: 3-line block ×3, first 2 shown]
	v_add_f16_e32 v38, v39, v38
	v_mul_f16_e32 v39, 0x3abb, v21
	v_sub_f16_e32 v35, v39, v35
	v_mul_f16_e32 v39, 0x36a6, v22
	v_sub_f16_e32 v36, v39, v36
	v_add_f16_e32 v35, v8, v35
	v_add_f16_e32 v35, v36, v35
	v_mul_f16_e32 v36, 0xb08e, v24
	v_sub_f16_e32 v36, v36, v37
	v_add_f16_e32 v35, v36, v35
	v_mul_f16_e32 v36, 0xb93d, v26
	v_sub_f16_e32 v36, v36, v40
	;; [unrolled: 3-line block ×3, first 2 shown]
	v_add_f16_e32 v35, v36, v35
	v_pk_add_f16 v9, v9, v31
	v_pack_b32_f16 v31, v35, v38
	v_mad_u32_u24 v35, v5, 40, v0
	s_movk_i32 s19, 0x3a0c
	ds_write2_b32 v35, v9, v31 offset1:1
	v_mul_f16_e32 v9, 0xb93d, v34
	v_fma_f16 v31, v27, s19, v9
	s_mov_b32 s23, 0x36a6b08e
	v_add_f16_e32 v17, v31, v17
	s_mov_b32 s24, 0xbbebbb47
	s_mov_b32 s25, 0xb93dbbad
	v_pk_mul_f16 v31, v21, s23
	s_mov_b32 s26, 0x3482ba0c
	v_pk_fma_f16 v36, v19, s24, v31 op_sel:[0,0,1] op_sel_hi:[1,1,0]
	v_pk_mul_f16 v38, v22, s25
	v_alignbit_b32 v37, s0, v36, 16
	v_pk_fma_f16 v39, v20, s26, v38 op_sel:[0,0,1] op_sel_hi:[1,1,0]
	v_pk_add_f16 v37, v8, v37
	v_alignbit_b32 v40, s0, v39, 16
	s_mov_b32 s23, 0xbbad36a6
	v_pk_add_f16 v37, v40, v37
	s_mov_b32 s25, 0x3b473482
	v_pk_mul_f16 v40, v24, s23
	v_pk_fma_f16 v41, v23, s25, v40 op_sel:[0,0,1] op_sel_hi:[1,1,0]
	v_alignbit_b32 v42, s0, v41, 16
	v_mul_f16_e32 v29, 0xb93d, v29
	v_pk_add_f16 v37, v42, v37
	v_fma_f16 v42, v19, s19, v29
	v_mul_f16_e32 v30, 0xb08e, v30
	v_fma_f16 v29, v19, s14, v29
	v_add_f16_sdwa v42, v8, v42 dst_sel:DWORD dst_unused:UNUSED_PAD src0_sel:WORD_1 src1_sel:DWORD
	v_fma_f16 v43, v20, s8, v30
	v_mul_f16_e32 v33, 0x3abb, v33
	v_add_f16_sdwa v29, v8, v29 dst_sel:DWORD dst_unused:UNUSED_PAD src0_sel:WORD_1 src1_sel:DWORD
	v_fma_f16 v30, v20, s22, v30
	v_add_f16_e32 v42, v43, v42
	v_fma_f16 v43, v23, s20, v33
	v_add_f16_e32 v29, v30, v29
	;; [unrolled: 2-line block ×3, first 2 shown]
	v_mul_f16_sdwa v43, v19, s14 dst_sel:DWORD dst_unused:UNUSED_PAD src0_sel:WORD_1 src1_sel:DWORD
	v_add_f16_e32 v29, v30, v29
	v_mul_f16_e32 v30, 0xbbad, v32
	v_fma_f16 v44, v21, s15, v43
	v_mul_f16_sdwa v48, v20, s22 dst_sel:DWORD dst_unused:UNUSED_PAD src0_sel:WORD_1 src1_sel:DWORD
	v_fma_f16 v32, v25, s16, v30
	v_add_f16_e32 v44, v8, v44
	v_fma_f16 v49, v22, s9, v48
	s_movk_i32 s19, 0x3b47
	v_add_f16_e32 v29, v32, v29
	v_mul_f16_e32 v32, 0x36a6, v34
	v_add_f16_e32 v44, v49, v44
	v_mul_f16_sdwa v49, v23, s18 dst_sel:DWORD dst_unused:UNUSED_PAD src0_sel:WORD_1 src1_sel:DWORD
	v_fma_f16 v33, v27, s19, v32
	v_fma_f16 v50, v24, s6, v49
	v_add_f16_e32 v29, v33, v29
	v_fma_f16 v33, v21, s15, -v43
	v_add_f16_e32 v44, v50, v44
	v_mul_f16_sdwa v50, v25, s16 dst_sel:DWORD dst_unused:UNUSED_PAD src0_sel:WORD_1 src1_sel:DWORD
	v_add_f16_e32 v33, v8, v33
	v_fma_f16 v34, v22, s9, -v48
	v_fma_f16 v51, v26, s17, v50
	v_add_f16_e32 v33, v34, v33
	v_fma_f16 v34, v24, s6, -v49
	v_add_f16_e32 v44, v51, v44
	v_mul_f16_sdwa v51, v27, s19 dst_sel:DWORD dst_unused:UNUSED_PAD src0_sel:WORD_1 src1_sel:DWORD
	v_add_f16_e32 v33, v34, v33
	v_fma_f16 v34, v26, s17, -v50
	v_add_f16_e32 v33, v34, v33
	v_fma_f16 v34, v28, s7, -v51
	v_fma_f16 v16, v19, s8, v16
	v_fma_f16 v10, v21, s7, -v10
	v_add_f16_e32 v33, v34, v33
	v_add_f16_sdwa v16, v8, v16 dst_sel:DWORD dst_unused:UNUSED_PAD src0_sel:WORD_1 src1_sel:DWORD
	v_fma_f16 v34, v20, s21, v45
	v_add_f16_e32 v10, v8, v10
	v_fma_f16 v12, v22, s15, -v12
	v_add_f16_e32 v16, v34, v16
	v_fma_f16 v34, v23, s19, v46
	v_add_f16_e32 v10, v12, v10
	v_fma_f16 v12, v24, s17, -v13
	v_add_f16_e32 v16, v34, v16
	;; [unrolled: 4-line block ×3, first 2 shown]
	v_fma_f16 v9, v27, s14, v9
	v_add_f16_e32 v10, v12, v10
	v_pk_fma_f16 v12, v19, s24, v31 op_sel:[0,0,1] op_sel_hi:[1,1,0] neg_lo:[1,0,0] neg_hi:[1,0,0]
	s_mov_b32 s22, 0xffff
	v_add_f16_e32 v9, v9, v16
	v_pk_fma_f16 v14, v20, s26, v38 op_sel:[0,0,1] op_sel_hi:[1,1,0] neg_lo:[1,0,0] neg_hi:[1,0,0]
	s_mov_b32 s18, 0xb08e3abb
	v_bfi_b32 v16, s22, v36, v12
	v_add_f16_sdwa v12, v8, v12 dst_sel:DWORD dst_unused:UNUSED_PAD src0_sel:WORD_1 src1_sel:DWORD
	v_fma_f16 v13, v28, s6, -v15
	v_pk_fma_f16 v15, v23, s25, v40 op_sel:[0,0,1] op_sel_hi:[1,1,0] neg_lo:[1,0,0] neg_hi:[1,0,0]
	v_add_f16_e32 v12, v14, v12
	v_bfi_b32 v14, s22, v39, v14
	v_pk_mul_f16 v31, v26, s18
	s_mov_b32 s18, 0xb8533beb
	v_pk_add_f16 v16, v8, v16 op_sel:[1,0] op_sel_hi:[0,1]
	v_pk_add_f16 v14, v14, v16
	v_pk_fma_f16 v16, v25, s18, v31 op_sel:[0,0,1] op_sel_hi:[1,1,0] neg_lo:[1,0,0] neg_hi:[1,0,0]
	s_mov_b32 s23, 0x3abbb93d
	v_add_f16_e32 v12, v15, v12
	v_bfi_b32 v15, s22, v41, v15
	v_pk_fma_f16 v31, v25, s18, v31 op_sel:[0,0,1] op_sel_hi:[1,1,0]
	v_pk_mul_f16 v34, v28, s23
	s_mov_b32 s23, 0xba0c3853
	v_pk_add_f16 v14, v15, v14
	v_add_f16_e32 v12, v16, v12
	v_bfi_b32 v16, s22, v31, v16
	v_pk_fma_f16 v15, v27, s23, v34 op_sel:[0,0,1] op_sel_hi:[1,1,0] neg_lo:[1,0,0] neg_hi:[1,0,0]
	v_pk_add_f16 v14, v16, v14
	v_pk_fma_f16 v16, v27, s23, v34 op_sel:[0,0,1] op_sel_hi:[1,1,0]
	v_add_f16_e32 v12, v15, v12
	v_bfi_b32 v15, s22, v16, v15
	v_add_f16_e32 v10, v13, v10
	v_pk_add_f16 v14, v15, v14
	v_alignbit_b32 v9, v9, v14, 16
	v_pack_b32_f16 v10, v10, v14
	ds_write2_b32 v35, v10, v9 offset0:2 offset1:3
	v_pack_b32_f16 v9, v33, v29
	ds_write_b32 v35, v9 offset:16
	v_pk_mul_f16 v9, v21, s17 op_sel_hi:[1,0]
	v_alignbit_b32 v13, s0, v8, 16
	v_pk_fma_f16 v10, v19, s16, v9 op_sel:[0,0,1] op_sel_hi:[1,0,0] neg_lo:[1,0,0] neg_hi:[1,0,0]
	v_pk_mul_f16 v14, v22, s6 op_sel_hi:[1,0]
	v_pk_add_f16 v13, v13, v10
	v_pk_fma_f16 v21, v20, s20, v14 op_sel:[0,0,1] op_sel_hi:[1,0,0] neg_lo:[1,0,0] neg_hi:[1,0,0]
	v_pk_mul_f16 v22, v24, s15 op_sel_hi:[1,0]
	v_pk_fma_f16 v9, v19, s16, v9 op_sel:[0,0,1] op_sel_hi:[1,0,0]
	v_alignbit_b32 v10, s0, v10, 16
	v_pk_fma_f16 v24, v23, s14, v22 op_sel:[0,0,1] op_sel_hi:[1,0,0] neg_lo:[1,0,0] neg_hi:[1,0,0]
	v_pk_mul_f16 v26, v26, s7 op_sel_hi:[1,0]
	v_pk_add_f16 v9, v8, v9 op_sel:[1,0] op_sel_hi:[0,1]
	v_pk_fma_f16 v14, v20, s20, v14 op_sel:[0,0,1] op_sel_hi:[1,0,0]
	v_pk_add_f16 v8, v8, v10
	v_alignbit_b32 v10, s0, v21, 16
	v_fma_f16 v52, v28, s7, v51
	v_pk_add_f16 v13, v21, v13
	v_pk_fma_f16 v29, v25, s19, v26 op_sel:[0,0,1] op_sel_hi:[1,0,0] neg_lo:[1,0,0] neg_hi:[1,0,0]
	v_pk_mul_f16 v28, v28, s9 op_sel_hi:[1,0]
	v_pk_add_f16 v9, v14, v9
	v_pk_fma_f16 v14, v23, s14, v22 op_sel:[0,0,1] op_sel_hi:[1,0,0]
	v_pk_add_f16 v8, v10, v8
	v_alignbit_b32 v10, s0, v24, 16
	v_pk_add_f16 v13, v24, v13
	v_pk_fma_f16 v33, v27, s8, v28 op_sel:[0,0,1] op_sel_hi:[1,0,0] neg_lo:[1,0,0] neg_hi:[1,0,0]
	v_pk_add_f16 v9, v14, v9
	v_pk_fma_f16 v14, v25, s19, v26 op_sel:[0,0,1] op_sel_hi:[1,0,0]
	v_pk_add_f16 v8, v10, v8
	v_alignbit_b32 v10, s0, v29, 16
	v_pk_add_f16 v13, v29, v13
	v_pk_add_f16 v9, v14, v9
	v_pk_fma_f16 v14, v27, s8, v28 op_sel:[0,0,1] op_sel_hi:[1,0,0]
	v_pk_add_f16 v8, v10, v8
	v_alignbit_b32 v10, s0, v33, 16
	v_pk_add_f16 v13, v33, v13
	v_pk_add_f16 v9, v14, v9
	;; [unrolled: 1-line block ×3, first 2 shown]
	v_pk_mul_f16 v16, v27, s23
	v_fma_f16 v30, v25, s21, v30
	v_alignbit_b32 v10, v13, v9, 16
	v_pack_b32_f16 v8, v8, v9
	ds_write2_b32 v35, v8, v10 offset0:5 offset1:6
	v_pack_b32_f16 v8, v30, v34
	v_bfi_b32 v9, s22, v42, v16
	v_mul_f16_e32 v15, 0x3b47, v27
	v_pk_add_f16 v8, v8, v9
	v_lshlrev_b32_e32 v9, 16, v37
	v_pk_add_f16 v10, v32, v15 neg_lo:[0,1] neg_hi:[0,1]
	v_pk_add_f16 v9, v31, v9
	v_bfi_b32 v9, s22, v10, v9
	v_add_f16_e32 v44, v52, v44
	v_pk_add_f16 v8, v9, v8
	v_alignbit_b32 v9, v17, v8, 16
	v_pack_b32_f16 v8, v44, v8
	s_mov_b32 s6, 0x5040100
	ds_write2_b32 v35, v8, v9 offset0:7 offset1:8
	v_pack_b32_f16 v8, v11, v12
	v_perm_b32 v9, v18, v7, s6
	ds_write2_b32 v35, v8, v9 offset0:9 offset1:10
.LBB0_15:
	s_or_b64 exec, exec, s[4:5]
	v_add_u32_e32 v8, 0x134, v5
	s_mov_b32 s4, 0xba2f
	v_mul_u32_u24_sdwa v12, v8, s4 dst_sel:DWORD dst_unused:UNUSED_PAD src0_sel:WORD_0 src1_sel:DWORD
	v_lshrrev_b32_e32 v25, 19, v12
	v_add_u32_e32 v9, 0x1ce, v5
	v_mul_lo_u16_e32 v12, 11, v25
	v_sub_u16_e32 v8, v8, v12
	v_mul_u32_u24_sdwa v12, v9, s4 dst_sel:DWORD dst_unused:UNUSED_PAD src0_sel:WORD_0 src1_sel:DWORD
	v_lshrrev_b32_e32 v26, 19, v12
	v_add_u32_e32 v10, 0x268, v5
	v_mul_lo_u16_e32 v12, 11, v26
	v_sub_u16_e32 v9, v9, v12
	v_mul_u32_u24_sdwa v12, v10, s4 dst_sel:DWORD dst_unused:UNUSED_PAD src0_sel:WORD_0 src1_sel:DWORD
	v_add_u32_e32 v19, 0x9a, v5
	v_lshrrev_b32_e32 v27, 19, v12
	v_mul_u32_u24_sdwa v20, v19, s4 dst_sel:DWORD dst_unused:UNUSED_PAD src0_sel:WORD_0 src1_sel:DWORD
	v_mul_lo_u16_e32 v12, 11, v27
	s_movk_i32 s4, 0x75
	v_sub_u16_e32 v10, v10, v12
	v_lshlrev_b32_e32 v29, 2, v9
	v_mul_lo_u16_sdwa v9, v5, s4 dst_sel:DWORD dst_unused:UNUSED_PAD src0_sel:BYTE_0 src1_sel:DWORD
	v_lshlrev_b32_e32 v30, 2, v10
	v_sub_u16_sdwa v10, v5, v9 dst_sel:DWORD dst_unused:UNUSED_PAD src0_sel:DWORD src1_sel:BYTE_1
	v_lshrrev_b16_e32 v10, 1, v10
	v_and_b32_e32 v10, 0x7f, v10
	v_add_u16_sdwa v9, v10, v9 dst_sel:DWORD dst_unused:UNUSED_PAD src0_sel:DWORD src1_sel:BYTE_1
	v_lshrrev_b32_e32 v21, 19, v20
	v_lshrrev_b16_e32 v35, 3, v9
	v_mul_lo_u16_e32 v11, 11, v21
	v_mul_lo_u16_e32 v9, 11, v35
	v_sub_u16_e32 v11, v19, v11
	v_sub_u16_e32 v9, v5, v9
	v_mov_b32_e32 v22, 2
	s_load_dwordx2 s[2:3], s[2:3], 0x0
	s_waitcnt lgkmcnt(0)
	s_barrier
	v_lshlrev_b32_e32 v28, 2, v11
	v_lshlrev_b32_e32 v8, 2, v8
	global_load_dword v31, v30, s[12:13]
	global_load_dword v32, v29, s[12:13]
	;; [unrolled: 1-line block ×4, first 2 shown]
	v_lshlrev_b32_sdwa v36, v22, v9 dst_sel:DWORD dst_unused:UNUSED_PAD src0_sel:DWORD src1_sel:BYTE_0
	global_load_dword v37, v36, s[12:13]
	v_add_u32_e32 v11, 0x900, v0
	v_add_u32_e32 v16, 0xe00, v0
	ds_read2_b32 v[12:13], v0 offset1:154
	ds_read2_b32 v[14:15], v6 offset0:52 offset1:206
	v_add_u32_e32 v6, 0x1200, v0
	ds_read2_b32 v[9:10], v11 offset0:40 offset1:194
	ds_read2_b32 v[16:17], v16 offset0:28 offset1:182
	;; [unrolled: 1-line block ×3, first 2 shown]
	v_mul_u32_u24_e32 v6, 0x58, v21
	v_mul_u32_u24_e32 v21, 0x58, v25
	;; [unrolled: 1-line block ×4, first 2 shown]
	v_add3_u32 v27, 0, v6, v28
	v_mul_u32_u24_e32 v6, 0x58, v35
	v_add3_u32 v21, 0, v21, v8
	v_add3_u32 v25, 0, v25, v29
	;; [unrolled: 1-line block ×3, first 2 shown]
	s_mov_b32 s4, 0xffff
	v_add3_u32 v26, 0, v26, v30
	s_waitcnt vmcnt(0) lgkmcnt(0)
	s_barrier
	v_pk_mul_f16 v6, v31, v24 op_sel:[0,1]
	v_pk_mul_f16 v8, v32, v23 op_sel:[0,1]
	;; [unrolled: 1-line block ×3, first 2 shown]
	v_pk_fma_f16 v35, v31, v24, v6 op_sel:[0,0,1] op_sel_hi:[1,1,0] neg_lo:[0,0,1] neg_hi:[0,0,1]
	v_pk_fma_f16 v6, v31, v24, v6 op_sel:[0,0,1] op_sel_hi:[1,0,0]
	v_pk_fma_f16 v24, v32, v23, v8 op_sel:[0,0,1] op_sel_hi:[1,1,0] neg_lo:[0,0,1] neg_hi:[0,0,1]
	v_pk_fma_f16 v8, v32, v23, v8 op_sel:[0,0,1] op_sel_hi:[1,0,0]
	;; [unrolled: 2-line block ×3, first 2 shown]
	v_bfi_b32 v17, s4, v23, v17
	v_pk_mul_f16 v23, v37, v10 op_sel:[0,1]
	v_pk_mul_f16 v30, v34, v16 op_sel:[0,1]
	v_bfi_b32 v8, s4, v24, v8
	v_pk_fma_f16 v24, v37, v10, v23 op_sel:[0,0,1] op_sel_hi:[1,1,0] neg_lo:[0,0,1] neg_hi:[0,0,1]
	v_pk_fma_f16 v10, v37, v10, v23 op_sel:[0,0,1] op_sel_hi:[1,0,0]
	v_pk_fma_f16 v29, v34, v16, v30 op_sel:[0,0,1] op_sel_hi:[1,1,0] neg_lo:[0,0,1] neg_hi:[0,0,1]
	v_pk_fma_f16 v16, v34, v16, v30 op_sel:[0,0,1] op_sel_hi:[1,0,0]
	v_bfi_b32 v10, s4, v24, v10
	v_bfi_b32 v6, s4, v35, v6
	;; [unrolled: 1-line block ×3, first 2 shown]
	v_pk_add_f16 v10, v12, v10 neg_lo:[0,1] neg_hi:[0,1]
	v_pk_add_f16 v6, v9, v6 neg_lo:[0,1] neg_hi:[0,1]
	;; [unrolled: 1-line block ×5, first 2 shown]
	v_pk_fma_f16 v12, v12, 2.0, v10 op_sel_hi:[1,0,1] neg_lo:[0,0,1] neg_hi:[0,0,1]
	v_pk_fma_f16 v9, v9, 2.0, v6 op_sel_hi:[1,0,1] neg_lo:[0,0,1] neg_hi:[0,0,1]
	;; [unrolled: 1-line block ×5, first 2 shown]
	ds_write2_b32 v28, v12, v10 offset1:11
	ds_write2_b32 v27, v13, v16 offset1:11
	;; [unrolled: 1-line block ×5, first 2 shown]
	v_add_u32_e32 v10, 0x680, v0
	s_waitcnt lgkmcnt(0)
	s_barrier
	ds_read2_b32 v[14:15], v10 offset0:24 offset1:244
	v_add_u32_e32 v10, 0xd80, v0
	ds_read2_b32 v[12:13], v0 offset1:220
	ds_read2_b32 v[16:17], v10 offset0:16 offset1:236
	ds_read_b32 v29, v0 offset:5280
	s_movk_i32 s4, 0x42
	v_cmp_gt_u32_e32 vcc, s4, v5
	v_lshrrev_b32_e32 v25, 16, v9
	v_lshrrev_b32_e32 v23, 16, v6
	;; [unrolled: 1-line block ×3, first 2 shown]
                                        ; implicit-def: $vgpr24
                                        ; implicit-def: $vgpr10
                                        ; implicit-def: $vgpr27
                                        ; implicit-def: $vgpr28
                                        ; implicit-def: $vgpr26
	s_and_saveexec_b64 s[4:5], vcc
	s_cbranch_execz .LBB0_17
; %bb.16:
	v_add_u32_e32 v6, 0x200, v0
	v_add_u32_e32 v10, 0x1000, v0
	ds_read2_b32 v[8:9], v6 offset0:26 offset1:246
	ds_read2_b32 v[6:7], v11 offset0:18 offset1:238
	;; [unrolled: 1-line block ×3, first 2 shown]
	ds_read_u16 v23, v0 offset:2378
	ds_read_b32 v28, v0 offset:5896
	s_waitcnt lgkmcnt(2)
	v_lshrrev_b32_e32 v24, 16, v10
	v_lshrrev_b32_e32 v21, 16, v8
	;; [unrolled: 1-line block ×4, first 2 shown]
	s_waitcnt lgkmcnt(0)
	v_lshrrev_b32_e32 v27, 16, v28
	v_lshrrev_b32_e32 v25, 16, v9
.LBB0_17:
	s_or_b64 exec, exec, s[4:5]
	v_lshrrev_b16_e32 v30, 1, v5
	v_and_b32_e32 v30, 0x7f, v30
	v_mul_lo_u16_e32 v30, 0xbb, v30
	v_lshrrev_b16_e32 v36, 11, v30
	v_mul_lo_u16_e32 v30, 22, v36
	v_sub_u16_e32 v37, v5, v30
	v_mov_b32_e32 v30, 6
	v_mul_u32_u24_sdwa v30, v37, v30 dst_sel:DWORD dst_unused:UNUSED_PAD src0_sel:BYTE_0 src1_sel:DWORD
	v_lshlrev_b32_e32 v38, 2, v30
	global_load_dwordx4 v[30:33], v38, s[12:13] offset:44
	global_load_dwordx2 v[34:35], v38, s[12:13] offset:60
	s_waitcnt lgkmcnt(2)
	v_lshrrev_b32_e32 v38, 16, v13
	v_lshrrev_b32_e32 v39, 16, v14
	s_waitcnt lgkmcnt(1)
	v_lshrrev_b32_e32 v42, 16, v17
	s_waitcnt lgkmcnt(0)
	v_lshrrev_b32_e32 v43, 16, v29
	v_lshrrev_b32_e32 v40, 16, v15
	;; [unrolled: 1-line block ×3, first 2 shown]
	s_movk_i32 s9, 0x2b26
	s_movk_i32 s6, 0x3b00
	s_mov_b32 s8, 0xbcab
	s_movk_i32 s7, 0x39e0
	s_mov_b32 s14, 0xb9e0
	;; [unrolled: 2-line block ×3, first 2 shown]
	s_movk_i32 s15, 0x370e
	v_lshlrev_b32_sdwa v22, v22, v37 dst_sel:DWORD dst_unused:UNUSED_PAD src0_sel:DWORD src1_sel:BYTE_0
	s_waitcnt vmcnt(0)
	s_barrier
	v_mul_f16_sdwa v44, v30, v38 dst_sel:DWORD dst_unused:UNUSED_PAD src0_sel:WORD_1 src1_sel:DWORD
	v_mul_f16_sdwa v45, v30, v13 dst_sel:DWORD dst_unused:UNUSED_PAD src0_sel:WORD_1 src1_sel:DWORD
	;; [unrolled: 1-line block ×12, first 2 shown]
	v_fma_f16 v13, v30, v13, -v44
	v_fma_f16 v30, v30, v38, v45
	v_fma_f16 v14, v31, v14, -v46
	v_fma_f16 v31, v31, v39, v47
	;; [unrolled: 2-line block ×6, first 2 shown]
	v_add_f16_e32 v38, v13, v29
	v_add_f16_e32 v39, v30, v35
	v_sub_f16_e32 v13, v13, v29
	v_sub_f16_e32 v29, v30, v35
	v_add_f16_e32 v30, v14, v17
	v_add_f16_e32 v35, v31, v34
	v_sub_f16_e32 v14, v14, v17
	v_sub_f16_e32 v17, v31, v34
	;; [unrolled: 4-line block ×4, first 2 shown]
	v_sub_f16_e32 v38, v38, v31
	v_sub_f16_e32 v39, v39, v34
	;; [unrolled: 1-line block ×4, first 2 shown]
	v_add_f16_e32 v42, v15, v14
	v_add_f16_e32 v43, v16, v17
	v_sub_f16_e32 v44, v15, v14
	v_sub_f16_e32 v45, v16, v17
	;; [unrolled: 1-line block ×3, first 2 shown]
	v_add_f16_e32 v31, v31, v32
	v_add_f16_e32 v32, v34, v33
	v_sub_f16_e32 v15, v13, v15
	v_sub_f16_e32 v16, v29, v16
	;; [unrolled: 1-line block ×3, first 2 shown]
	v_add_f16_e32 v13, v42, v13
	v_add_f16_e32 v29, v43, v29
	v_mul_f16_e32 v33, 0x3a52, v38
	v_mul_f16_e32 v34, 0x3a52, v39
	;; [unrolled: 1-line block ×7, first 2 shown]
	v_add_f16_e32 v46, v31, v12
	v_add_f16_sdwa v12, v32, v12 dst_sel:DWORD dst_unused:UNUSED_PAD src0_sel:DWORD src1_sel:WORD_1
	v_mul_f16_e32 v45, 0x3b00, v17
	v_fma_f16 v30, v30, s9, v33
	v_fma_f16 v35, v35, s9, v34
	v_fma_f16 v38, v40, s7, -v38
	v_fma_f16 v39, v41, s7, -v39
	;; [unrolled: 1-line block ×3, first 2 shown]
	v_fma_f16 v31, v31, s8, v46
	v_fma_f16 v32, v32, s8, v12
	v_fma_f16 v34, v41, s14, -v34
	v_fma_f16 v40, v15, s16, v42
	v_fma_f16 v41, v16, s16, v43
	v_fma_f16 v14, v14, s6, -v42
	v_fma_f16 v15, v15, s17, -v44
	;; [unrolled: 1-line block ×4, first 2 shown]
	v_add_f16_e32 v30, v30, v31
	v_add_f16_e32 v35, v35, v32
	;; [unrolled: 1-line block ×6, first 2 shown]
	v_fma_f16 v33, v13, s15, v40
	v_fma_f16 v34, v29, s15, v41
	;; [unrolled: 1-line block ×6, first 2 shown]
	v_add_f16_e32 v16, v34, v30
	v_sub_f16_e32 v29, v35, v33
	v_sub_f16_e32 v41, v32, v13
	v_add_f16_e32 v13, v13, v32
	v_mul_u32_u24_e32 v32, 0x268, v36
	v_add_f16_e32 v40, v15, v31
	v_sub_f16_e32 v42, v38, v17
	v_add_f16_e32 v43, v14, v39
	v_add3_u32 v22, 0, v32, v22
	v_pack_b32_f16 v12, v46, v12
	v_pack_b32_f16 v16, v16, v29
	v_add_f16_e32 v17, v17, v38
	v_sub_f16_e32 v14, v39, v14
	v_sub_f16_e32 v15, v31, v15
	ds_write2_b32 v22, v12, v16 offset1:22
	v_pack_b32_f16 v12, v40, v41
	v_pack_b32_f16 v16, v42, v43
	v_sub_f16_e32 v30, v30, v34
	v_add_f16_e32 v31, v33, v35
	ds_write2_b32 v22, v12, v16 offset0:44 offset1:66
	v_pack_b32_f16 v12, v17, v14
	v_pack_b32_f16 v13, v15, v13
	ds_write2_b32 v22, v12, v13 offset0:88 offset1:110
	v_pack_b32_f16 v12, v30, v31
	ds_write_b32 v22, v12 offset:528
	s_and_saveexec_b64 s[4:5], vcc
	s_cbranch_execz .LBB0_19
; %bb.18:
	v_lshrrev_b32_e32 v12, 20, v20
	v_mul_lo_u16_e32 v12, 22, v12
	v_sub_u16_e32 v20, v19, v12
	v_mul_u32_u24_e32 v12, 6, v20
	v_lshlrev_b32_e32 v22, 2, v12
	global_load_dwordx4 v[12:15], v22, s[12:13] offset:44
	global_load_dwordx2 v[16:17], v22, s[12:13] offset:60
	s_waitcnt vmcnt(1)
	v_mul_f16_sdwa v22, v25, v12 dst_sel:DWORD dst_unused:UNUSED_PAD src0_sel:DWORD src1_sel:WORD_1
	s_waitcnt vmcnt(0)
	v_mul_f16_sdwa v29, v27, v17 dst_sel:DWORD dst_unused:UNUSED_PAD src0_sel:DWORD src1_sel:WORD_1
	v_mul_f16_sdwa v30, v24, v15 dst_sel:DWORD dst_unused:UNUSED_PAD src0_sel:DWORD src1_sel:WORD_1
	;; [unrolled: 1-line block ×11, first 2 shown]
	v_fma_f16 v9, v9, v12, -v22
	v_fma_f16 v22, v28, v17, -v29
	;; [unrolled: 1-line block ×6, first 2 shown]
	v_fma_f16 v17, v27, v17, v34
	v_fma_f16 v12, v25, v12, v35
	;; [unrolled: 1-line block ×6, first 2 shown]
	v_sub_f16_e32 v18, v9, v22
	v_sub_f16_e32 v23, v10, v7
	;; [unrolled: 1-line block ×3, first 2 shown]
	v_add_f16_e32 v25, v12, v17
	v_add_f16_e32 v27, v13, v16
	;; [unrolled: 1-line block ×6, first 2 shown]
	v_sub_f16_e32 v10, v12, v17
	v_sub_f16_e32 v11, v15, v14
	;; [unrolled: 1-line block ×4, first 2 shown]
	v_add_f16_e32 v15, v23, v24
	v_add_f16_e32 v22, v27, v25
	;; [unrolled: 1-line block ×3, first 2 shown]
	v_sub_f16_e32 v13, v18, v23
	v_sub_f16_e32 v16, v25, v26
	;; [unrolled: 1-line block ×6, first 2 shown]
	v_add_f16_e32 v11, v11, v12
	v_sub_f16_e32 v24, v24, v18
	v_sub_f16_e32 v6, v6, v9
	;; [unrolled: 1-line block ×3, first 2 shown]
	v_mul_f16_e32 v12, 0xb846, v14
	v_add_f16_e32 v14, v15, v18
	v_add_f16_e32 v18, v26, v22
	;; [unrolled: 1-line block ×3, first 2 shown]
	v_sub_f16_e32 v17, v26, v27
	v_sub_f16_e32 v25, v27, v25
	v_mul_f16_e32 v15, 0x3a52, v16
	v_mul_f16_e32 v22, 0x3a52, v23
	;; [unrolled: 1-line block ×4, first 2 shown]
	v_add_f16_e32 v10, v11, v10
	v_mul_f16_e32 v11, 0x3b00, v24
	v_mul_f16_e32 v27, 0x3b00, v9
	v_add_f16_e32 v21, v21, v18
	v_add_f16_e32 v8, v8, v7
	v_mul_f16_e32 v16, 0x2b26, v17
	v_fma_f16 v29, v13, s16, v12
	v_fma_f16 v17, v17, s9, v15
	v_fma_f16 v28, v28, s9, v22
	v_fma_f16 v11, v13, s17, -v11
	v_fma_f16 v13, v25, s14, -v15
	;; [unrolled: 1-line block ×4, first 2 shown]
	v_fma_f16 v18, v18, s8, v21
	v_fma_f16 v7, v7, s8, v8
	v_fma_f16 v9, v9, s6, -v26
	v_fma_f16 v6, v6, s7, -v23
	v_fma_f16 v11, v14, s15, v11
	v_fma_f16 v22, v10, s15, v22
	v_add_f16_e32 v13, v13, v18
	v_add_f16_e32 v15, v15, v7
	v_fma_f16 v9, v10, s15, v9
	v_add_f16_e32 v6, v6, v7
	v_add_f16_e32 v28, v28, v7
	;; [unrolled: 1-line block ×3, first 2 shown]
	v_sub_f16_e32 v33, v15, v22
	v_add_f16_e32 v7, v9, v6
	v_sub_f16_e32 v6, v6, v9
	v_sub_f16_e32 v9, v13, v11
	v_add_f16_e32 v11, v22, v15
	v_lshrrev_b16_e32 v15, 1, v19
	v_and_b32_e32 v15, 0x7f, v15
	v_fma_f16 v31, v30, s16, v26
	v_fma_f16 v16, v25, s7, -v16
	v_fma_f16 v12, v24, s6, -v12
	v_mul_lo_u16_e32 v15, 0xbb, v15
	v_fma_f16 v27, v14, s15, v29
	v_fma_f16 v29, v10, s15, v31
	v_add_f16_e32 v17, v17, v18
	v_add_f16_e32 v16, v16, v18
	v_fma_f16 v12, v14, s15, v12
	v_lshrrev_b16_e32 v15, 11, v15
	v_sub_f16_e32 v14, v16, v12
	v_add_f16_e32 v10, v12, v16
	v_sub_f16_e32 v12, v17, v27
	v_add_f16_e32 v13, v29, v28
	v_mul_u32_u24_e32 v15, 0x268, v15
	v_lshlrev_b32_e32 v16, 2, v20
	v_add3_u32 v15, 0, v15, v16
	v_pack_b32_f16 v8, v8, v21
	v_pack_b32_f16 v12, v13, v12
	ds_write2_b32 v15, v8, v12 offset1:22
	v_pack_b32_f16 v8, v11, v9
	v_pack_b32_f16 v6, v6, v10
	v_add_f16_e32 v30, v27, v17
	v_sub_f16_e32 v31, v28, v29
	ds_write2_b32 v15, v8, v6 offset0:44 offset1:66
	v_pack_b32_f16 v6, v7, v14
	v_pack_b32_f16 v7, v33, v32
	ds_write2_b32 v15, v6, v7 offset0:88 offset1:110
	v_pack_b32_f16 v6, v31, v30
	ds_write_b32 v15, v6 offset:528
.LBB0_19:
	s_or_b64 exec, exec, s[4:5]
	v_lshlrev_b32_e32 v10, 2, v5
	v_mov_b32_e32 v11, 0
	v_lshlrev_b64 v[6:7], 2, v[10:11]
	v_mov_b32_e32 v22, s13
	v_add_co_u32_e32 v6, vcc, s12, v6
	v_addc_co_u32_e32 v7, vcc, v22, v7, vcc
	s_waitcnt lgkmcnt(0)
	s_barrier
	global_load_dwordx4 v[6:9], v[6:7], off offset:572
	v_add_u32_e32 v23, 0x400, v0
	ds_read2_b32 v[12:13], v0 offset1:154
	v_add_u32_e32 v24, 0x900, v0
	v_add_u32_e32 v25, 0xe00, v0
	;; [unrolled: 1-line block ×3, first 2 shown]
	ds_read2_b32 v[14:15], v23 offset0:52 offset1:206
	ds_read2_b32 v[16:17], v24 offset0:40 offset1:194
	;; [unrolled: 1-line block ×4, first 2 shown]
	s_movk_i32 s4, 0x3b9c
	s_waitcnt lgkmcnt(3)
	v_lshrrev_b32_e32 v32, 16, v14
	s_waitcnt lgkmcnt(2)
	v_lshrrev_b32_e32 v33, 16, v16
	;; [unrolled: 2-line block ×3, first 2 shown]
	v_lshrrev_b32_e32 v30, 16, v19
	s_waitcnt lgkmcnt(0)
	v_lshrrev_b32_e32 v35, 16, v20
	v_lshrrev_b32_e32 v31, 16, v21
	;; [unrolled: 1-line block ×4, first 2 shown]
	s_mov_b32 s7, 0xbb9c
	s_movk_i32 s5, 0x38b4
	s_mov_b32 s8, 0xb8b4
	v_lshrrev_b32_e32 v27, 16, v12
	s_movk_i32 s6, 0x34f2
	v_lshrrev_b32_e32 v28, 16, v13
	s_waitcnt vmcnt(0)
	s_barrier
	v_mul_f16_sdwa v39, v7, v33 dst_sel:DWORD dst_unused:UNUSED_PAD src0_sel:WORD_1 src1_sel:DWORD
	v_mul_f16_sdwa v41, v8, v34 dst_sel:DWORD dst_unused:UNUSED_PAD src0_sel:WORD_1 src1_sel:DWORD
	;; [unrolled: 1-line block ×8, first 2 shown]
	v_mul_f16_sdwa v49, v30, v8 dst_sel:DWORD dst_unused:UNUSED_PAD src0_sel:DWORD src1_sel:WORD_1
	v_mul_f16_sdwa v50, v19, v8 dst_sel:DWORD dst_unused:UNUSED_PAD src0_sel:DWORD src1_sel:WORD_1
	v_fma_f16 v16, v7, v16, -v39
	v_fma_f16 v18, v8, v18, -v41
	v_mul_f16_sdwa v51, v31, v9 dst_sel:DWORD dst_unused:UNUSED_PAD src0_sel:DWORD src1_sel:WORD_1
	v_mul_f16_sdwa v52, v21, v9 dst_sel:DWORD dst_unused:UNUSED_PAD src0_sel:DWORD src1_sel:WORD_1
	v_fma_f16 v14, v6, v14, -v37
	v_fma_f16 v32, v6, v32, v38
	v_fma_f16 v34, v8, v34, v42
	v_fma_f16 v20, v9, v20, -v43
	v_fma_f16 v35, v9, v35, v44
	v_fma_f16 v19, v19, v8, -v49
	v_fma_f16 v8, v30, v8, v50
	v_add_f16_e32 v30, v16, v18
	v_mul_f16_sdwa v45, v6, v36 dst_sel:DWORD dst_unused:UNUSED_PAD src0_sel:WORD_1 src1_sel:DWORD
	v_mul_f16_sdwa v46, v6, v15 dst_sel:DWORD dst_unused:UNUSED_PAD src0_sel:WORD_1 src1_sel:DWORD
	v_mul_f16_sdwa v47, v29, v7 dst_sel:DWORD dst_unused:UNUSED_PAD src0_sel:DWORD src1_sel:WORD_1
	v_mul_f16_sdwa v48, v17, v7 dst_sel:DWORD dst_unused:UNUSED_PAD src0_sel:DWORD src1_sel:WORD_1
	v_fma_f16 v33, v7, v33, v40
	v_fma_f16 v21, v21, v9, -v51
	v_fma_f16 v9, v31, v9, v52
	v_sub_f16_e32 v31, v32, v35
	v_sub_f16_e32 v37, v14, v16
	;; [unrolled: 1-line block ×3, first 2 shown]
	v_add_f16_e32 v39, v14, v20
	v_fma_f16 v30, v30, -0.5, v12
	v_fma_f16 v15, v6, v15, -v45
	v_fma_f16 v6, v6, v36, v46
	v_fma_f16 v17, v17, v7, -v47
	v_fma_f16 v7, v29, v7, v48
	v_add_f16_e32 v29, v12, v14
	v_sub_f16_e32 v36, v33, v34
	v_add_f16_e32 v37, v37, v38
	v_fma_f16 v12, v39, -0.5, v12
	v_fma_f16 v38, v31, s4, v30
	v_fma_f16 v30, v31, s7, v30
	v_add_f16_e32 v29, v29, v16
	v_fma_f16 v39, v36, s7, v12
	v_fma_f16 v38, v36, s5, v38
	;; [unrolled: 1-line block ×4, first 2 shown]
	v_add_f16_e32 v36, v33, v34
	v_sub_f16_e32 v40, v16, v14
	v_sub_f16_e32 v41, v18, v20
	v_add_f16_e32 v29, v29, v18
	v_fma_f16 v36, v36, -0.5, v27
	v_sub_f16_e32 v14, v14, v20
	v_add_f16_e32 v29, v29, v20
	v_fma_f16 v39, v31, s5, v39
	v_fma_f16 v38, v37, s6, v38
	;; [unrolled: 1-line block ×3, first 2 shown]
	v_add_f16_e32 v37, v40, v41
	v_fma_f16 v12, v31, s8, v12
	v_fma_f16 v20, v14, s7, v36
	v_sub_f16_e32 v16, v16, v18
	v_fma_f16 v39, v37, s6, v39
	v_fma_f16 v12, v37, s6, v12
	;; [unrolled: 1-line block ×3, first 2 shown]
	v_sub_f16_e32 v20, v32, v33
	v_sub_f16_e32 v37, v35, v34
	v_fma_f16 v36, v14, s4, v36
	v_add_f16_e32 v20, v20, v37
	v_fma_f16 v36, v16, s5, v36
	v_fma_f16 v18, v20, s6, v18
	;; [unrolled: 1-line block ×3, first 2 shown]
	v_add_f16_e32 v36, v32, v35
	v_add_f16_e32 v31, v27, v32
	v_fma_f16 v27, v36, -0.5, v27
	v_add_f16_e32 v31, v31, v33
	v_fma_f16 v36, v16, s4, v27
	v_sub_f16_e32 v32, v33, v32
	v_sub_f16_e32 v33, v34, v35
	v_fma_f16 v16, v16, s7, v27
	v_fma_f16 v36, v14, s8, v36
	v_add_f16_e32 v32, v32, v33
	v_fma_f16 v14, v14, s5, v16
	v_add_f16_e32 v27, v17, v19
	v_add_f16_e32 v31, v31, v34
	v_fma_f16 v33, v32, s6, v36
	v_fma_f16 v14, v32, s6, v14
	v_fma_f16 v27, v27, -0.5, v13
	v_sub_f16_e32 v32, v6, v9
	v_add_f16_e32 v31, v31, v35
	v_fma_f16 v34, v32, s4, v27
	v_sub_f16_e32 v35, v7, v8
	v_sub_f16_e32 v36, v15, v17
	;; [unrolled: 1-line block ×3, first 2 shown]
	v_fma_f16 v27, v32, s7, v27
	v_fma_f16 v34, v35, s5, v34
	v_add_f16_e32 v36, v36, v37
	v_fma_f16 v27, v35, s8, v27
	v_fma_f16 v34, v36, s6, v34
	;; [unrolled: 1-line block ×3, first 2 shown]
	v_add_f16_e32 v36, v15, v21
	v_add_f16_e32 v16, v13, v15
	v_fma_f16 v13, v36, -0.5, v13
	v_add_f16_e32 v16, v16, v17
	v_fma_f16 v36, v35, s7, v13
	v_fma_f16 v13, v35, s4, v13
	v_add_f16_e32 v35, v7, v8
	v_add_f16_e32 v16, v16, v19
	v_sub_f16_e32 v37, v17, v15
	v_sub_f16_e32 v40, v19, v21
	v_fma_f16 v35, v35, -0.5, v28
	v_sub_f16_e32 v15, v15, v21
	v_add_f16_e32 v16, v16, v21
	v_fma_f16 v36, v32, s5, v36
	v_add_f16_e32 v37, v37, v40
	v_fma_f16 v13, v32, s8, v13
	v_fma_f16 v21, v15, s7, v35
	v_sub_f16_e32 v17, v17, v19
	v_fma_f16 v36, v37, s6, v36
	v_fma_f16 v13, v37, s6, v13
	;; [unrolled: 1-line block ×3, first 2 shown]
	v_sub_f16_e32 v21, v6, v7
	v_sub_f16_e32 v37, v9, v8
	v_fma_f16 v35, v15, s4, v35
	v_add_f16_e32 v21, v21, v37
	v_fma_f16 v35, v17, s5, v35
	v_add_f16_e32 v32, v28, v6
	v_fma_f16 v19, v21, s6, v19
	v_fma_f16 v21, v21, s6, v35
	v_add_f16_e32 v35, v6, v9
	v_add_f16_e32 v32, v32, v7
	v_fma_f16 v28, v35, -0.5, v28
	v_add_f16_e32 v32, v32, v8
	v_fma_f16 v35, v17, s4, v28
	v_sub_f16_e32 v6, v7, v6
	v_sub_f16_e32 v7, v8, v9
	v_fma_f16 v8, v17, s7, v28
	v_fma_f16 v35, v15, s8, v35
	v_add_f16_e32 v6, v6, v7
	v_fma_f16 v8, v15, s5, v8
	v_add_f16_e32 v32, v32, v9
	v_fma_f16 v7, v6, s6, v35
	v_fma_f16 v6, v6, s6, v8
	v_pack_b32_f16 v8, v29, v31
	v_pack_b32_f16 v9, v38, v18
	ds_write2_b32 v0, v8, v9 offset1:154
	v_pack_b32_f16 v8, v39, v33
	v_pack_b32_f16 v9, v12, v14
	ds_write2_b32 v23, v8, v9 offset0:52 offset1:206
	v_pack_b32_f16 v8, v30, v20
	v_pack_b32_f16 v9, v16, v32
	ds_write2_b32 v24, v8, v9 offset0:40 offset1:194
	;; [unrolled: 3-line block ×4, first 2 shown]
	v_mov_b32_e32 v6, v11
	v_lshlrev_b64 v[6:7], 2, v[5:6]
	s_waitcnt lgkmcnt(0)
	v_add_co_u32_e32 v8, vcc, s12, v6
	v_addc_co_u32_e32 v9, vcc, v22, v7, vcc
	s_barrier
	global_load_dword v19, v[8:9], off offset:3036
	global_load_dword v20, v[8:9], off offset:3652
	s_movk_i32 s4, 0x1000
	v_add_co_u32_e32 v8, vcc, s4, v8
	v_addc_co_u32_e32 v9, vcc, 0, v9, vcc
	global_load_dword v21, v[8:9], off offset:172
	global_load_dword v22, v[8:9], off offset:788
	;; [unrolled: 1-line block ×3, first 2 shown]
	ds_read2_b32 v[8:9], v24 offset0:40 offset1:194
	ds_read2_b32 v[11:12], v0 offset1:154
	ds_read2_b32 v[13:14], v25 offset0:28 offset1:182
	ds_read2_b32 v[15:16], v23 offset0:52 offset1:206
	;; [unrolled: 1-line block ×3, first 2 shown]
	s_mov_b32 s7, 0xffff
	s_waitcnt vmcnt(0) lgkmcnt(0)
	s_barrier
	s_add_u32 s6, s12, 0x17e4
	s_addc_u32 s8, s13, 0
	v_cmp_ne_u32_e32 vcc, 0, v5
	v_pk_mul_f16 v28, v19, v9 op_sel:[0,1]
	v_pk_fma_f16 v29, v19, v9, v28 op_sel:[0,0,1] op_sel_hi:[1,1,0] neg_lo:[0,0,1] neg_hi:[0,0,1]
	v_pk_fma_f16 v9, v19, v9, v28 op_sel:[0,0,1] op_sel_hi:[1,0,0]
	v_pk_mul_f16 v19, v20, v13 op_sel:[0,1]
	v_pk_fma_f16 v28, v20, v13, v19 op_sel:[0,0,1] op_sel_hi:[1,1,0] neg_lo:[0,0,1] neg_hi:[0,0,1]
	v_pk_fma_f16 v13, v20, v13, v19 op_sel:[0,0,1] op_sel_hi:[1,0,0]
	v_pk_mul_f16 v19, v21, v14 op_sel:[0,1]
	v_pk_fma_f16 v20, v21, v14, v19 op_sel:[0,0,1] op_sel_hi:[1,1,0] neg_lo:[0,0,1] neg_hi:[0,0,1]
	v_pk_fma_f16 v14, v21, v14, v19 op_sel:[0,0,1] op_sel_hi:[1,0,0]
	v_pk_mul_f16 v19, v22, v17 op_sel:[0,1]
	v_bfi_b32 v14, s7, v20, v14
	v_pk_fma_f16 v20, v22, v17, v19 op_sel:[0,0,1] op_sel_hi:[1,1,0] neg_lo:[0,0,1] neg_hi:[0,0,1]
	v_pk_fma_f16 v17, v22, v17, v19 op_sel:[0,0,1] op_sel_hi:[1,0,0]
	v_pk_mul_f16 v19, v27, v18 op_sel:[0,1]
	v_bfi_b32 v9, s7, v29, v9
	v_bfi_b32 v13, s7, v28, v13
	;; [unrolled: 1-line block ×3, first 2 shown]
	v_pk_fma_f16 v20, v27, v18, v19 op_sel:[0,0,1] op_sel_hi:[1,1,0] neg_lo:[0,0,1] neg_hi:[0,0,1]
	v_pk_fma_f16 v18, v27, v18, v19 op_sel:[0,0,1] op_sel_hi:[1,0,0]
	v_pk_add_f16 v9, v11, v9 neg_lo:[0,1] neg_hi:[0,1]
	v_pk_add_f16 v13, v12, v13 neg_lo:[0,1] neg_hi:[0,1]
	v_bfi_b32 v18, s7, v20, v18
	v_pk_fma_f16 v11, v11, 2.0, v9 op_sel_hi:[1,0,1] neg_lo:[0,0,1] neg_hi:[0,0,1]
	v_pk_fma_f16 v12, v12, 2.0, v13 op_sel_hi:[1,0,1] neg_lo:[0,0,1] neg_hi:[0,0,1]
	v_pk_add_f16 v14, v15, v14 neg_lo:[0,1] neg_hi:[0,1]
	v_pk_add_f16 v17, v16, v17 neg_lo:[0,1] neg_hi:[0,1]
	;; [unrolled: 1-line block ×3, first 2 shown]
	v_pk_fma_f16 v15, v15, 2.0, v14 op_sel_hi:[1,0,1] neg_lo:[0,0,1] neg_hi:[0,0,1]
	v_pk_fma_f16 v16, v16, 2.0, v17 op_sel_hi:[1,0,1] neg_lo:[0,0,1] neg_hi:[0,0,1]
	;; [unrolled: 1-line block ×3, first 2 shown]
	ds_write2_b32 v0, v11, v12 offset1:154
	ds_write2_b32 v25, v13, v14 offset0:28 offset1:182
	ds_write2_b32 v23, v15, v16 offset0:52 offset1:206
	;; [unrolled: 1-line block ×4, first 2 shown]
	s_waitcnt lgkmcnt(0)
	s_barrier
	ds_read_b32 v12, v0
	v_sub_u32_e32 v8, 0, v10
                                        ; implicit-def: $vgpr11
                                        ; implicit-def: $vgpr9
                                        ; implicit-def: $vgpr10
	s_and_saveexec_b64 s[4:5], vcc
	s_xor_b64 s[4:5], exec, s[4:5]
	s_cbranch_execz .LBB0_21
; %bb.20:
	v_mov_b32_e32 v10, s8
	v_add_co_u32_e32 v9, vcc, s6, v6
	v_addc_co_u32_e32 v10, vcc, v10, v7, vcc
	global_load_dword v9, v[9:10], off
	ds_read_b32 v10, v8 offset:6160
	s_waitcnt lgkmcnt(0)
	v_pk_add_f16 v11, v12, v10 neg_lo:[0,1] neg_hi:[0,1]
	v_pk_add_f16 v10, v10, v12
	v_bfi_b32 v12, s7, v11, v10
	v_bfi_b32 v10, s7, v10, v11
	v_pk_mul_f16 v11, v12, 0.5 op_sel_hi:[1,0]
	v_pk_mul_f16 v12, v10, 0.5 op_sel_hi:[1,0]
	s_waitcnt vmcnt(0)
	v_pk_mul_f16 v13, v9, v11 op_sel:[1,0]
	v_pk_mul_f16 v14, v9, v11 op_sel_hi:[0,1]
	v_pk_fma_f16 v9, v10, 0.5, v13 op_sel_hi:[1,0,1]
	v_sub_f16_e32 v10, v12, v13
	v_sub_f16_sdwa v12, v13, v12 dst_sel:DWORD dst_unused:UNUSED_PAD src0_sel:WORD_1 src1_sel:WORD_1
	v_pk_add_f16 v11, v9, v14 op_sel:[0,1] op_sel_hi:[1,0]
	v_pk_add_f16 v13, v9, v14 op_sel:[0,1] op_sel_hi:[1,0] neg_lo:[0,1] neg_hi:[0,1]
	v_sub_f16_sdwa v9, v10, v14 dst_sel:DWORD dst_unused:UNUSED_PAD src0_sel:DWORD src1_sel:WORD_1
	v_bfi_b32 v11, s7, v11, v13
	v_sub_f16_e32 v10, v12, v14
                                        ; implicit-def: $vgpr12
.LBB0_21:
	s_andn2_saveexec_b64 s[4:5], s[4:5]
	s_cbranch_execz .LBB0_23
; %bb.22:
	v_mov_b32_e32 v10, 0
	ds_read_u16 v11, v10 offset:3082
	s_waitcnt lgkmcnt(1)
	v_alignbit_b32 v13, s0, v12, 16
	v_sub_f16_sdwa v9, v12, v12 dst_sel:DWORD dst_unused:UNUSED_PAD src0_sel:DWORD src1_sel:WORD_1
	v_pk_add_f16 v12, v13, v12
	s_waitcnt lgkmcnt(0)
	v_xor_b32_e32 v11, 0x8000, v11
	ds_write_b16 v10, v11 offset:3082
	v_pack_b32_f16 v11, v12, 0
.LBB0_23:
	s_or_b64 exec, exec, s[4:5]
	s_waitcnt lgkmcnt(0)
	v_mov_b32_e32 v12, s8
	v_add_co_u32_e32 v6, vcc, s6, v6
	v_addc_co_u32_e32 v7, vcc, v12, v7, vcc
	global_load_dword v12, v[6:7], off offset:616
	global_load_dword v13, v[6:7], off offset:1232
	;; [unrolled: 1-line block ×3, first 2 shown]
	ds_write_b16 v8, v10 offset:6162
	ds_write_b32 v0, v11
	ds_write_b16 v8, v9 offset:6160
	ds_read_b32 v9, v0 offset:616
	ds_read_b32 v10, v8 offset:5544
	global_load_dword v6, v[6:7], off offset:2464
	s_mov_b32 s4, 0xffff
	s_waitcnt lgkmcnt(0)
	v_pk_add_f16 v7, v9, v10 neg_lo:[0,1] neg_hi:[0,1]
	v_pk_add_f16 v9, v9, v10
	v_bfi_b32 v10, s4, v7, v9
	v_bfi_b32 v7, s4, v9, v7
	v_pk_mul_f16 v9, v10, 0.5 op_sel_hi:[1,0]
	v_pk_mul_f16 v10, v7, 0.5 op_sel_hi:[1,0]
	s_waitcnt vmcnt(3)
	v_pk_mul_f16 v11, v12, v9 op_sel:[1,0]
	v_pk_mul_f16 v9, v12, v9 op_sel_hi:[0,1]
	v_pk_fma_f16 v7, v7, 0.5, v11 op_sel_hi:[1,0,1]
	v_sub_f16_e32 v12, v10, v11
	v_sub_f16_sdwa v10, v11, v10 dst_sel:DWORD dst_unused:UNUSED_PAD src0_sel:WORD_1 src1_sel:WORD_1
	v_pk_add_f16 v11, v7, v9 op_sel:[0,1] op_sel_hi:[1,0]
	v_pk_add_f16 v7, v7, v9 op_sel:[0,1] op_sel_hi:[1,0] neg_lo:[0,1] neg_hi:[0,1]
	v_sub_f16_sdwa v12, v12, v9 dst_sel:DWORD dst_unused:UNUSED_PAD src0_sel:DWORD src1_sel:WORD_1
	v_sub_f16_e32 v9, v10, v9
	v_bfi_b32 v7, s4, v11, v7
	ds_write_b16 v8, v9 offset:5546
	ds_write_b32 v0, v7 offset:616
	ds_write_b16 v8, v12 offset:5544
	ds_read_b32 v7, v0 offset:1232
	ds_read_b32 v9, v8 offset:4928
	s_waitcnt lgkmcnt(0)
	v_pk_add_f16 v10, v7, v9 neg_lo:[0,1] neg_hi:[0,1]
	v_pk_add_f16 v7, v7, v9
	v_bfi_b32 v9, s4, v10, v7
	v_bfi_b32 v7, s4, v7, v10
	v_pk_mul_f16 v9, v9, 0.5 op_sel_hi:[1,0]
	v_pk_mul_f16 v7, v7, 0.5 op_sel_hi:[1,0]
	s_waitcnt vmcnt(2)
	v_pk_fma_f16 v10, v13, v9, v7 op_sel:[1,0,0]
	v_pk_mul_f16 v11, v13, v9 op_sel_hi:[0,1]
	v_pk_fma_f16 v12, v13, v9, v7 op_sel:[1,0,0] neg_lo:[1,0,0] neg_hi:[1,0,0]
	v_pk_fma_f16 v7, v13, v9, v7 op_sel:[1,0,0] neg_lo:[0,0,1] neg_hi:[0,0,1]
	v_pk_add_f16 v9, v10, v11 op_sel:[0,1] op_sel_hi:[1,0]
	v_pk_add_f16 v10, v10, v11 op_sel:[0,1] op_sel_hi:[1,0] neg_lo:[0,1] neg_hi:[0,1]
	v_pk_add_f16 v12, v12, v11 op_sel:[0,1] op_sel_hi:[1,0] neg_lo:[0,1] neg_hi:[0,1]
	v_pk_add_f16 v7, v7, v11 op_sel:[0,1] op_sel_hi:[1,0] neg_lo:[0,1] neg_hi:[0,1]
	v_bfi_b32 v9, s4, v9, v10
	v_bfi_b32 v7, s4, v12, v7
	ds_write_b32 v0, v9 offset:1232
	ds_write_b32 v8, v7 offset:4928
	ds_read_b32 v7, v0 offset:1848
	ds_read_b32 v9, v8 offset:4312
	s_waitcnt lgkmcnt(0)
	v_pk_add_f16 v10, v7, v9 neg_lo:[0,1] neg_hi:[0,1]
	v_pk_add_f16 v7, v7, v9
	v_bfi_b32 v9, s4, v10, v7
	v_bfi_b32 v7, s4, v7, v10
	v_pk_mul_f16 v9, v9, 0.5 op_sel_hi:[1,0]
	v_pk_mul_f16 v7, v7, 0.5 op_sel_hi:[1,0]
	s_waitcnt vmcnt(1)
	v_pk_fma_f16 v10, v14, v9, v7 op_sel:[1,0,0]
	v_pk_mul_f16 v11, v14, v9 op_sel_hi:[0,1]
	v_pk_fma_f16 v12, v14, v9, v7 op_sel:[1,0,0] neg_lo:[1,0,0] neg_hi:[1,0,0]
	v_pk_fma_f16 v7, v14, v9, v7 op_sel:[1,0,0] neg_lo:[0,0,1] neg_hi:[0,0,1]
	v_pk_add_f16 v9, v10, v11 op_sel:[0,1] op_sel_hi:[1,0]
	v_pk_add_f16 v10, v10, v11 op_sel:[0,1] op_sel_hi:[1,0] neg_lo:[0,1] neg_hi:[0,1]
	v_pk_add_f16 v12, v12, v11 op_sel:[0,1] op_sel_hi:[1,0] neg_lo:[0,1] neg_hi:[0,1]
	v_pk_add_f16 v7, v7, v11 op_sel:[0,1] op_sel_hi:[1,0] neg_lo:[0,1] neg_hi:[0,1]
	v_bfi_b32 v9, s4, v9, v10
	v_bfi_b32 v7, s4, v12, v7
	ds_write_b32 v0, v9 offset:1848
	ds_write_b32 v8, v7 offset:4312
	;; [unrolled: 22-line block ×3, first 2 shown]
	s_waitcnt lgkmcnt(0)
	s_barrier
	s_and_saveexec_b64 s[4:5], s[0:1]
	s_cbranch_execz .LBB0_26
; %bb.24:
	v_mul_lo_u32 v0, s3, v3
	v_mul_lo_u32 v6, s2, v4
	v_mad_u64_u32 v[3:4], s[0:1], s2, v3, 0
	v_lshlrev_b64 v[1:2], 2, v[1:2]
	v_lshl_add_u32 v9, v5, 2, 0
	v_add3_u32 v4, v4, v6, v0
	v_lshlrev_b64 v[3:4], 2, v[3:4]
	v_mov_b32_e32 v0, s11
	v_add_co_u32_e32 v3, vcc, s10, v3
	v_addc_co_u32_e32 v0, vcc, v0, v4, vcc
	v_mov_b32_e32 v6, 0
	ds_read2_b32 v[7:8], v9 offset1:154
	v_add_co_u32_e32 v1, vcc, v3, v1
	v_addc_co_u32_e32 v0, vcc, v0, v2, vcc
	v_lshlrev_b64 v[2:3], 2, v[5:6]
	v_add_u32_e32 v4, 0x400, v9
	v_add_co_u32_e32 v2, vcc, v1, v2
	v_addc_co_u32_e32 v3, vcc, v0, v3, vcc
	s_waitcnt lgkmcnt(0)
	global_store_dword v[2:3], v7, off
	v_add_u32_e32 v2, 0x9a, v5
	v_mov_b32_e32 v3, v6
	v_lshlrev_b64 v[2:3], 2, v[2:3]
	s_movk_i32 s0, 0x99
	v_add_co_u32_e32 v2, vcc, v1, v2
	v_addc_co_u32_e32 v3, vcc, v0, v3, vcc
	global_store_dword v[2:3], v8, off
	v_add_u32_e32 v2, 0x134, v5
	v_mov_b32_e32 v3, v6
	ds_read2_b32 v[7:8], v4 offset0:52 offset1:206
	v_lshlrev_b64 v[2:3], 2, v[2:3]
	v_add_u32_e32 v4, 0x900, v9
	v_add_co_u32_e32 v2, vcc, v1, v2
	v_addc_co_u32_e32 v3, vcc, v0, v3, vcc
	s_waitcnt lgkmcnt(0)
	global_store_dword v[2:3], v7, off
	v_add_u32_e32 v2, 0x1ce, v5
	v_mov_b32_e32 v3, v6
	v_lshlrev_b64 v[2:3], 2, v[2:3]
	v_add_co_u32_e32 v2, vcc, v1, v2
	v_addc_co_u32_e32 v3, vcc, v0, v3, vcc
	global_store_dword v[2:3], v8, off
	v_add_u32_e32 v2, 0x268, v5
	v_mov_b32_e32 v3, v6
	ds_read2_b32 v[7:8], v4 offset0:40 offset1:194
	v_lshlrev_b64 v[2:3], 2, v[2:3]
	v_add_u32_e32 v4, 0xe00, v9
	v_add_co_u32_e32 v2, vcc, v1, v2
	v_addc_co_u32_e32 v3, vcc, v0, v3, vcc
	s_waitcnt lgkmcnt(0)
	global_store_dword v[2:3], v7, off
	v_add_u32_e32 v2, 0x302, v5
	v_mov_b32_e32 v3, v6
	v_lshlrev_b64 v[2:3], 2, v[2:3]
	v_add_co_u32_e32 v2, vcc, v1, v2
	v_addc_co_u32_e32 v3, vcc, v0, v3, vcc
	global_store_dword v[2:3], v8, off
	v_add_u32_e32 v2, 0x39c, v5
	v_mov_b32_e32 v3, v6
	ds_read2_b32 v[7:8], v4 offset0:28 offset1:182
	v_lshlrev_b64 v[2:3], 2, v[2:3]
	v_add_u32_e32 v4, 0x1200, v9
	v_add_co_u32_e32 v2, vcc, v1, v2
	v_addc_co_u32_e32 v3, vcc, v0, v3, vcc
	s_waitcnt lgkmcnt(0)
	global_store_dword v[2:3], v7, off
	v_add_u32_e32 v2, 0x436, v5
	v_mov_b32_e32 v3, v6
	v_lshlrev_b64 v[2:3], 2, v[2:3]
	v_add_co_u32_e32 v2, vcc, v1, v2
	v_addc_co_u32_e32 v3, vcc, v0, v3, vcc
	global_store_dword v[2:3], v8, off
	v_add_u32_e32 v2, 0x4d0, v5
	v_mov_b32_e32 v3, v6
	ds_read2_b32 v[7:8], v4 offset0:80 offset1:234
	v_lshlrev_b64 v[2:3], 2, v[2:3]
	v_add_co_u32_e32 v2, vcc, v1, v2
	v_addc_co_u32_e32 v3, vcc, v0, v3, vcc
	s_waitcnt lgkmcnt(0)
	global_store_dword v[2:3], v7, off
	v_add_u32_e32 v2, 0x56a, v5
	v_mov_b32_e32 v3, v6
	v_lshlrev_b64 v[2:3], 2, v[2:3]
	v_add_co_u32_e32 v2, vcc, v1, v2
	v_addc_co_u32_e32 v3, vcc, v0, v3, vcc
	v_cmp_eq_u32_e32 vcc, s0, v5
	global_store_dword v[2:3], v8, off
	s_and_b64 exec, exec, vcc
	s_cbranch_execz .LBB0_26
; %bb.25:
	ds_read_b32 v3, v6 offset:6160
	v_add_co_u32_e32 v1, vcc, 0x1000, v1
	v_addc_co_u32_e32 v2, vcc, 0, v0, vcc
	s_waitcnt lgkmcnt(0)
	global_store_dword v[1:2], v3, off offset:2064
.LBB0_26:
	s_endpgm
	.section	.rodata,"a",@progbits
	.p2align	6, 0x0
	.amdhsa_kernel fft_rtc_fwd_len1540_factors_11_2_7_5_2_wgs_154_tpt_154_halfLds_half_op_CI_CI_unitstride_sbrr_R2C_dirReg
		.amdhsa_group_segment_fixed_size 0
		.amdhsa_private_segment_fixed_size 0
		.amdhsa_kernarg_size 104
		.amdhsa_user_sgpr_count 6
		.amdhsa_user_sgpr_private_segment_buffer 1
		.amdhsa_user_sgpr_dispatch_ptr 0
		.amdhsa_user_sgpr_queue_ptr 0
		.amdhsa_user_sgpr_kernarg_segment_ptr 1
		.amdhsa_user_sgpr_dispatch_id 0
		.amdhsa_user_sgpr_flat_scratch_init 0
		.amdhsa_user_sgpr_private_segment_size 0
		.amdhsa_uses_dynamic_stack 0
		.amdhsa_system_sgpr_private_segment_wavefront_offset 0
		.amdhsa_system_sgpr_workgroup_id_x 1
		.amdhsa_system_sgpr_workgroup_id_y 0
		.amdhsa_system_sgpr_workgroup_id_z 0
		.amdhsa_system_sgpr_workgroup_info 0
		.amdhsa_system_vgpr_workitem_id 0
		.amdhsa_next_free_vgpr 56
		.amdhsa_next_free_sgpr 28
		.amdhsa_reserve_vcc 1
		.amdhsa_reserve_flat_scratch 0
		.amdhsa_float_round_mode_32 0
		.amdhsa_float_round_mode_16_64 0
		.amdhsa_float_denorm_mode_32 3
		.amdhsa_float_denorm_mode_16_64 3
		.amdhsa_dx10_clamp 1
		.amdhsa_ieee_mode 1
		.amdhsa_fp16_overflow 0
		.amdhsa_exception_fp_ieee_invalid_op 0
		.amdhsa_exception_fp_denorm_src 0
		.amdhsa_exception_fp_ieee_div_zero 0
		.amdhsa_exception_fp_ieee_overflow 0
		.amdhsa_exception_fp_ieee_underflow 0
		.amdhsa_exception_fp_ieee_inexact 0
		.amdhsa_exception_int_div_zero 0
	.end_amdhsa_kernel
	.text
.Lfunc_end0:
	.size	fft_rtc_fwd_len1540_factors_11_2_7_5_2_wgs_154_tpt_154_halfLds_half_op_CI_CI_unitstride_sbrr_R2C_dirReg, .Lfunc_end0-fft_rtc_fwd_len1540_factors_11_2_7_5_2_wgs_154_tpt_154_halfLds_half_op_CI_CI_unitstride_sbrr_R2C_dirReg
                                        ; -- End function
	.section	.AMDGPU.csdata,"",@progbits
; Kernel info:
; codeLenInByte = 9636
; NumSgprs: 32
; NumVgprs: 56
; ScratchSize: 0
; MemoryBound: 0
; FloatMode: 240
; IeeeMode: 1
; LDSByteSize: 0 bytes/workgroup (compile time only)
; SGPRBlocks: 3
; VGPRBlocks: 13
; NumSGPRsForWavesPerEU: 32
; NumVGPRsForWavesPerEU: 56
; Occupancy: 4
; WaveLimiterHint : 1
; COMPUTE_PGM_RSRC2:SCRATCH_EN: 0
; COMPUTE_PGM_RSRC2:USER_SGPR: 6
; COMPUTE_PGM_RSRC2:TRAP_HANDLER: 0
; COMPUTE_PGM_RSRC2:TGID_X_EN: 1
; COMPUTE_PGM_RSRC2:TGID_Y_EN: 0
; COMPUTE_PGM_RSRC2:TGID_Z_EN: 0
; COMPUTE_PGM_RSRC2:TIDIG_COMP_CNT: 0
	.type	__hip_cuid_b764e50ed888dac8,@object ; @__hip_cuid_b764e50ed888dac8
	.section	.bss,"aw",@nobits
	.globl	__hip_cuid_b764e50ed888dac8
__hip_cuid_b764e50ed888dac8:
	.byte	0                               ; 0x0
	.size	__hip_cuid_b764e50ed888dac8, 1

	.ident	"AMD clang version 19.0.0git (https://github.com/RadeonOpenCompute/llvm-project roc-6.4.0 25133 c7fe45cf4b819c5991fe208aaa96edf142730f1d)"
	.section	".note.GNU-stack","",@progbits
	.addrsig
	.addrsig_sym __hip_cuid_b764e50ed888dac8
	.amdgpu_metadata
---
amdhsa.kernels:
  - .args:
      - .actual_access:  read_only
        .address_space:  global
        .offset:         0
        .size:           8
        .value_kind:     global_buffer
      - .offset:         8
        .size:           8
        .value_kind:     by_value
      - .actual_access:  read_only
        .address_space:  global
        .offset:         16
        .size:           8
        .value_kind:     global_buffer
      - .actual_access:  read_only
        .address_space:  global
        .offset:         24
        .size:           8
        .value_kind:     global_buffer
      - .actual_access:  read_only
        .address_space:  global
        .offset:         32
        .size:           8
        .value_kind:     global_buffer
      - .offset:         40
        .size:           8
        .value_kind:     by_value
      - .actual_access:  read_only
        .address_space:  global
        .offset:         48
        .size:           8
        .value_kind:     global_buffer
      - .actual_access:  read_only
        .address_space:  global
        .offset:         56
        .size:           8
        .value_kind:     global_buffer
      - .offset:         64
        .size:           4
        .value_kind:     by_value
      - .actual_access:  read_only
        .address_space:  global
        .offset:         72
        .size:           8
        .value_kind:     global_buffer
      - .actual_access:  read_only
        .address_space:  global
        .offset:         80
        .size:           8
        .value_kind:     global_buffer
      - .actual_access:  read_only
        .address_space:  global
        .offset:         88
        .size:           8
        .value_kind:     global_buffer
      - .actual_access:  write_only
        .address_space:  global
        .offset:         96
        .size:           8
        .value_kind:     global_buffer
    .group_segment_fixed_size: 0
    .kernarg_segment_align: 8
    .kernarg_segment_size: 104
    .language:       OpenCL C
    .language_version:
      - 2
      - 0
    .max_flat_workgroup_size: 154
    .name:           fft_rtc_fwd_len1540_factors_11_2_7_5_2_wgs_154_tpt_154_halfLds_half_op_CI_CI_unitstride_sbrr_R2C_dirReg
    .private_segment_fixed_size: 0
    .sgpr_count:     32
    .sgpr_spill_count: 0
    .symbol:         fft_rtc_fwd_len1540_factors_11_2_7_5_2_wgs_154_tpt_154_halfLds_half_op_CI_CI_unitstride_sbrr_R2C_dirReg.kd
    .uniform_work_group_size: 1
    .uses_dynamic_stack: false
    .vgpr_count:     56
    .vgpr_spill_count: 0
    .wavefront_size: 64
amdhsa.target:   amdgcn-amd-amdhsa--gfx906
amdhsa.version:
  - 1
  - 2
...

	.end_amdgpu_metadata
